;; amdgpu-corpus repo=ROCm/rocFFT kind=compiled arch=gfx906 opt=O3
	.text
	.amdgcn_target "amdgcn-amd-amdhsa--gfx906"
	.amdhsa_code_object_version 6
	.protected	fft_rtc_back_len400_factors_4_10_10_wgs_120_tpt_40_halfLds_half_op_CI_CI_unitstride_sbrr_dirReg ; -- Begin function fft_rtc_back_len400_factors_4_10_10_wgs_120_tpt_40_halfLds_half_op_CI_CI_unitstride_sbrr_dirReg
	.globl	fft_rtc_back_len400_factors_4_10_10_wgs_120_tpt_40_halfLds_half_op_CI_CI_unitstride_sbrr_dirReg
	.p2align	8
	.type	fft_rtc_back_len400_factors_4_10_10_wgs_120_tpt_40_halfLds_half_op_CI_CI_unitstride_sbrr_dirReg,@function
fft_rtc_back_len400_factors_4_10_10_wgs_120_tpt_40_halfLds_half_op_CI_CI_unitstride_sbrr_dirReg: ; @fft_rtc_back_len400_factors_4_10_10_wgs_120_tpt_40_halfLds_half_op_CI_CI_unitstride_sbrr_dirReg
; %bb.0:
	v_mul_u32_u24_e32 v1, 0x667, v0
	s_load_dwordx4 s[8:11], s[4:5], 0x58
	s_load_dwordx4 s[12:15], s[4:5], 0x0
	;; [unrolled: 1-line block ×3, first 2 shown]
	v_lshrrev_b32_e32 v1, 16, v1
	v_mad_u64_u32 v[6:7], s[0:1], s6, 3, v[1:2]
	v_mov_b32_e32 v3, 0
	s_waitcnt lgkmcnt(0)
	v_cmp_lt_u64_e64 s[0:1], s[14:15], 2
	v_mov_b32_e32 v8, 0
	v_mov_b32_e32 v7, v3
	;; [unrolled: 1-line block ×5, first 2 shown]
	s_and_b64 vcc, exec, s[0:1]
	v_mov_b32_e32 v2, v9
	v_mov_b32_e32 v5, v7
	s_cbranch_vccnz .LBB0_8
; %bb.1:
	s_load_dwordx2 s[0:1], s[4:5], 0x10
	s_add_u32 s2, s18, 8
	s_addc_u32 s3, s19, 0
	s_add_u32 s6, s16, 8
	s_addc_u32 s7, s17, 0
	v_mov_b32_e32 v8, 0
	s_waitcnt lgkmcnt(0)
	s_add_u32 s20, s0, 8
	v_mov_b32_e32 v9, 0
	v_mov_b32_e32 v1, v8
	;; [unrolled: 1-line block ×3, first 2 shown]
	s_addc_u32 s21, s1, 0
	s_mov_b64 s[22:23], 1
	v_mov_b32_e32 v2, v9
	v_mov_b32_e32 v10, v6
.LBB0_2:                                ; =>This Inner Loop Header: Depth=1
	s_load_dwordx2 s[24:25], s[20:21], 0x0
	s_waitcnt lgkmcnt(0)
	v_or_b32_e32 v4, s25, v11
	v_cmp_ne_u64_e32 vcc, 0, v[3:4]
                                        ; implicit-def: $vgpr4_vgpr5
	s_and_saveexec_b64 s[0:1], vcc
	s_xor_b64 s[26:27], exec, s[0:1]
	s_cbranch_execz .LBB0_4
; %bb.3:                                ;   in Loop: Header=BB0_2 Depth=1
	v_cvt_f32_u32_e32 v4, s24
	v_cvt_f32_u32_e32 v5, s25
	s_sub_u32 s0, 0, s24
	s_subb_u32 s1, 0, s25
	v_mac_f32_e32 v4, 0x4f800000, v5
	v_rcp_f32_e32 v4, v4
	v_mul_f32_e32 v4, 0x5f7ffffc, v4
	v_mul_f32_e32 v5, 0x2f800000, v4
	v_trunc_f32_e32 v5, v5
	v_mac_f32_e32 v4, 0xcf800000, v5
	v_cvt_u32_f32_e32 v5, v5
	v_cvt_u32_f32_e32 v4, v4
	v_mul_lo_u32 v7, s0, v5
	v_mul_hi_u32 v12, s0, v4
	v_mul_lo_u32 v14, s1, v4
	v_mul_lo_u32 v13, s0, v4
	v_add_u32_e32 v7, v12, v7
	v_add_u32_e32 v7, v7, v14
	v_mul_hi_u32 v12, v4, v13
	v_mul_lo_u32 v14, v4, v7
	v_mul_hi_u32 v16, v4, v7
	v_mul_hi_u32 v15, v5, v13
	v_mul_lo_u32 v13, v5, v13
	v_mul_hi_u32 v17, v5, v7
	v_add_co_u32_e32 v12, vcc, v12, v14
	v_addc_co_u32_e32 v14, vcc, 0, v16, vcc
	v_mul_lo_u32 v7, v5, v7
	v_add_co_u32_e32 v12, vcc, v12, v13
	v_addc_co_u32_e32 v12, vcc, v14, v15, vcc
	v_addc_co_u32_e32 v13, vcc, 0, v17, vcc
	v_add_co_u32_e32 v7, vcc, v12, v7
	v_addc_co_u32_e32 v12, vcc, 0, v13, vcc
	v_add_co_u32_e32 v4, vcc, v4, v7
	v_addc_co_u32_e32 v5, vcc, v5, v12, vcc
	v_mul_lo_u32 v7, s0, v5
	v_mul_hi_u32 v12, s0, v4
	v_mul_lo_u32 v13, s1, v4
	v_mul_lo_u32 v14, s0, v4
	v_add_u32_e32 v7, v12, v7
	v_add_u32_e32 v7, v7, v13
	v_mul_lo_u32 v15, v4, v7
	v_mul_hi_u32 v16, v4, v14
	v_mul_hi_u32 v17, v4, v7
	;; [unrolled: 1-line block ×3, first 2 shown]
	v_mul_lo_u32 v14, v5, v14
	v_mul_hi_u32 v12, v5, v7
	v_add_co_u32_e32 v15, vcc, v16, v15
	v_addc_co_u32_e32 v16, vcc, 0, v17, vcc
	v_mul_lo_u32 v7, v5, v7
	v_add_co_u32_e32 v14, vcc, v15, v14
	v_addc_co_u32_e32 v13, vcc, v16, v13, vcc
	v_addc_co_u32_e32 v12, vcc, 0, v12, vcc
	v_add_co_u32_e32 v7, vcc, v13, v7
	v_addc_co_u32_e32 v12, vcc, 0, v12, vcc
	v_add_co_u32_e32 v7, vcc, v4, v7
	v_addc_co_u32_e32 v12, vcc, v5, v12, vcc
	v_mad_u64_u32 v[4:5], s[0:1], v10, v12, 0
	v_mul_hi_u32 v13, v10, v7
	v_add_co_u32_e32 v14, vcc, v13, v4
	v_addc_co_u32_e32 v15, vcc, 0, v5, vcc
	v_mad_u64_u32 v[4:5], s[0:1], v11, v7, 0
	v_mad_u64_u32 v[12:13], s[0:1], v11, v12, 0
	v_add_co_u32_e32 v4, vcc, v14, v4
	v_addc_co_u32_e32 v4, vcc, v15, v5, vcc
	v_addc_co_u32_e32 v5, vcc, 0, v13, vcc
	v_add_co_u32_e32 v7, vcc, v4, v12
	v_addc_co_u32_e32 v12, vcc, 0, v5, vcc
	v_mul_lo_u32 v13, s25, v7
	v_mul_lo_u32 v14, s24, v12
	v_mad_u64_u32 v[4:5], s[0:1], s24, v7, 0
	v_add3_u32 v5, v5, v14, v13
	v_sub_u32_e32 v13, v11, v5
	v_mov_b32_e32 v14, s25
	v_sub_co_u32_e32 v4, vcc, v10, v4
	v_subb_co_u32_e64 v13, s[0:1], v13, v14, vcc
	v_subrev_co_u32_e64 v14, s[0:1], s24, v4
	v_subbrev_co_u32_e64 v13, s[0:1], 0, v13, s[0:1]
	v_cmp_le_u32_e64 s[0:1], s25, v13
	v_cndmask_b32_e64 v15, 0, -1, s[0:1]
	v_cmp_le_u32_e64 s[0:1], s24, v14
	v_cndmask_b32_e64 v14, 0, -1, s[0:1]
	v_cmp_eq_u32_e64 s[0:1], s25, v13
	v_cndmask_b32_e64 v13, v15, v14, s[0:1]
	v_add_co_u32_e64 v14, s[0:1], 2, v7
	v_addc_co_u32_e64 v15, s[0:1], 0, v12, s[0:1]
	v_add_co_u32_e64 v16, s[0:1], 1, v7
	v_addc_co_u32_e64 v17, s[0:1], 0, v12, s[0:1]
	v_subb_co_u32_e32 v5, vcc, v11, v5, vcc
	v_cmp_ne_u32_e64 s[0:1], 0, v13
	v_cmp_le_u32_e32 vcc, s25, v5
	v_cndmask_b32_e64 v13, v17, v15, s[0:1]
	v_cndmask_b32_e64 v15, 0, -1, vcc
	v_cmp_le_u32_e32 vcc, s24, v4
	v_cndmask_b32_e64 v4, 0, -1, vcc
	v_cmp_eq_u32_e32 vcc, s25, v5
	v_cndmask_b32_e32 v4, v15, v4, vcc
	v_cmp_ne_u32_e32 vcc, 0, v4
	v_cndmask_b32_e64 v4, v16, v14, s[0:1]
	v_cndmask_b32_e32 v5, v12, v13, vcc
	v_cndmask_b32_e32 v4, v7, v4, vcc
.LBB0_4:                                ;   in Loop: Header=BB0_2 Depth=1
	s_andn2_saveexec_b64 s[0:1], s[26:27]
	s_cbranch_execz .LBB0_6
; %bb.5:                                ;   in Loop: Header=BB0_2 Depth=1
	v_cvt_f32_u32_e32 v4, s24
	s_sub_i32 s26, 0, s24
	v_rcp_iflag_f32_e32 v4, v4
	v_mul_f32_e32 v4, 0x4f7ffffe, v4
	v_cvt_u32_f32_e32 v4, v4
	v_mul_lo_u32 v5, s26, v4
	v_mul_hi_u32 v5, v4, v5
	v_add_u32_e32 v4, v4, v5
	v_mul_hi_u32 v4, v10, v4
	v_mul_lo_u32 v5, v4, s24
	v_add_u32_e32 v7, 1, v4
	v_sub_u32_e32 v5, v10, v5
	v_subrev_u32_e32 v12, s24, v5
	v_cmp_le_u32_e32 vcc, s24, v5
	v_cndmask_b32_e32 v5, v5, v12, vcc
	v_cndmask_b32_e32 v4, v4, v7, vcc
	v_add_u32_e32 v7, 1, v4
	v_cmp_le_u32_e32 vcc, s24, v5
	v_cndmask_b32_e32 v4, v4, v7, vcc
	v_mov_b32_e32 v5, v3
.LBB0_6:                                ;   in Loop: Header=BB0_2 Depth=1
	s_or_b64 exec, exec, s[0:1]
	v_mul_lo_u32 v7, v5, s24
	v_mul_lo_u32 v14, v4, s25
	v_mad_u64_u32 v[12:13], s[0:1], v4, s24, 0
	s_load_dwordx2 s[0:1], s[6:7], 0x0
	s_load_dwordx2 s[24:25], s[2:3], 0x0
	v_add3_u32 v7, v13, v14, v7
	v_sub_co_u32_e32 v10, vcc, v10, v12
	v_subb_co_u32_e32 v7, vcc, v11, v7, vcc
	s_waitcnt lgkmcnt(0)
	v_mul_lo_u32 v11, s0, v7
	v_mul_lo_u32 v12, s1, v10
	v_mad_u64_u32 v[8:9], s[0:1], s0, v10, v[8:9]
	s_add_u32 s22, s22, 1
	s_addc_u32 s23, s23, 0
	s_add_u32 s2, s2, 8
	v_mul_lo_u32 v7, s24, v7
	v_mul_lo_u32 v13, s25, v10
	v_mad_u64_u32 v[1:2], s[0:1], s24, v10, v[1:2]
	v_add3_u32 v9, v12, v9, v11
	s_addc_u32 s3, s3, 0
	v_mov_b32_e32 v10, s14
	s_add_u32 s6, s6, 8
	v_mov_b32_e32 v11, s15
	s_addc_u32 s7, s7, 0
	v_cmp_ge_u64_e32 vcc, s[22:23], v[10:11]
	s_add_u32 s20, s20, 8
	v_add3_u32 v2, v13, v2, v7
	s_addc_u32 s21, s21, 0
	s_cbranch_vccnz .LBB0_8
; %bb.7:                                ;   in Loop: Header=BB0_2 Depth=1
	v_mov_b32_e32 v11, v5
	v_mov_b32_e32 v10, v4
	s_branch .LBB0_2
.LBB0_8:
	s_load_dwordx2 s[0:1], s[4:5], 0x28
	s_lshl_b64 s[6:7], s[14:15], 3
	s_add_u32 s2, s18, s6
	s_addc_u32 s3, s19, s7
                                        ; implicit-def: $sgpr15
                                        ; implicit-def: $sgpr14
                                        ; implicit-def: $vgpr10
	s_waitcnt lgkmcnt(0)
	v_cmp_gt_u64_e32 vcc, s[0:1], v[4:5]
	v_cmp_le_u64_e64 s[0:1], s[0:1], v[4:5]
	s_and_saveexec_b64 s[4:5], s[0:1]
	s_xor_b64 s[0:1], exec, s[4:5]
; %bb.9:
	s_mov_b32 s4, 0x6666667
	v_mul_hi_u32 v3, v0, s4
	s_mov_b32 s14, 0
	s_mov_b32 s15, 0
                                        ; implicit-def: $vgpr8_vgpr9
	v_mul_u32_u24_e32 v3, 40, v3
	v_sub_u32_e32 v10, v0, v3
                                        ; implicit-def: $vgpr0
; %bb.10:
	s_or_saveexec_b64 s[4:5], s[0:1]
	s_load_dwordx2 s[2:3], s[2:3], 0x0
	v_mov_b32_e32 v11, s14
	v_mov_b32_e32 v3, s15
	;; [unrolled: 1-line block ×5, first 2 shown]
                                        ; implicit-def: $vgpr22
                                        ; implicit-def: $vgpr15
                                        ; implicit-def: $vgpr25
                                        ; implicit-def: $vgpr18
                                        ; implicit-def: $vgpr27
                                        ; implicit-def: $vgpr26
                                        ; implicit-def: $vgpr7
                                        ; implicit-def: $vgpr24
                                        ; implicit-def: $vgpr28
                                        ; implicit-def: $vgpr20
                                        ; implicit-def: $vgpr29
                                        ; implicit-def: $vgpr17
                                        ; implicit-def: $vgpr30
                                        ; implicit-def: $vgpr21
                                        ; implicit-def: $vgpr33
                                        ; implicit-def: $vgpr19
                                        ; implicit-def: $vgpr13
                                        ; implicit-def: $vgpr23
                                        ; implicit-def: $vgpr32
                                        ; implicit-def: $vgpr31
	s_xor_b64 exec, exec, s[4:5]
	s_cbranch_execz .LBB0_14
; %bb.11:
	s_add_u32 s0, s16, s6
	s_addc_u32 s1, s17, s7
	s_load_dwordx2 s[0:1], s[0:1], 0x0
	s_mov_b32 s6, 0x6666667
	v_mul_hi_u32 v3, v0, s6
	v_mov_b32_e32 v16, 0
	v_mov_b32_e32 v14, 0
	s_waitcnt lgkmcnt(0)
	v_mul_lo_u32 v7, s1, v4
	v_mul_lo_u32 v13, s0, v5
	v_mad_u64_u32 v[11:12], s[0:1], s0, v4, 0
	v_mul_u32_u24_e32 v3, 40, v3
	v_sub_u32_e32 v10, v0, v3
	v_add3_u32 v12, v12, v13, v7
	v_lshlrev_b64 v[11:12], 2, v[11:12]
	v_mov_b32_e32 v0, s9
	v_add_co_u32_e64 v3, s[0:1], s8, v11
	v_lshlrev_b64 v[7:8], 2, v[8:9]
	v_addc_co_u32_e64 v0, s[0:1], v0, v12, s[0:1]
	v_add_co_u32_e64 v3, s[0:1], v3, v7
	v_addc_co_u32_e64 v0, s[0:1], v0, v8, s[0:1]
	v_lshlrev_b32_e32 v7, 2, v10
	v_add_co_u32_e64 v7, s[0:1], v3, v7
	v_addc_co_u32_e64 v8, s[0:1], 0, v0, s[0:1]
	global_load_dword v15, v[7:8], off
	global_load_dword v19, v[7:8], off offset:1360
	global_load_dword v24, v[7:8], off offset:1200
	;; [unrolled: 1-line block ×7, first 2 shown]
	v_cmp_gt_u32_e64 s[0:1], 20, v10
	v_mov_b32_e32 v12, 0
	v_mov_b32_e32 v11, 0
                                        ; implicit-def: $vgpr31
                                        ; implicit-def: $vgpr32
                                        ; implicit-def: $vgpr23
                                        ; implicit-def: $vgpr13
	s_and_saveexec_b64 s[6:7], s[0:1]
	s_cbranch_execz .LBB0_13
; %bb.12:
	global_load_dword v14, v[7:8], off offset:320
	global_load_dword v16, v[7:8], off offset:720
	;; [unrolled: 1-line block ×4, first 2 shown]
	s_waitcnt vmcnt(3)
	v_lshrrev_b32_e32 v11, 16, v14
	s_waitcnt vmcnt(2)
	v_lshrrev_b32_e32 v12, 16, v16
	;; [unrolled: 2-line block ×4, first 2 shown]
.LBB0_13:
	s_or_b64 exec, exec, s[6:7]
	s_waitcnt vmcnt(7)
	v_lshrrev_b32_e32 v22, 16, v15
	s_waitcnt vmcnt(1)
	v_lshrrev_b32_e32 v25, 16, v18
	v_lshrrev_b32_e32 v27, 16, v26
	;; [unrolled: 1-line block ×3, first 2 shown]
	s_waitcnt vmcnt(0)
	v_lshrrev_b32_e32 v28, 16, v20
	v_lshrrev_b32_e32 v29, 16, v17
	;; [unrolled: 1-line block ×4, first 2 shown]
	v_mov_b32_e32 v3, v10
.LBB0_14:
	s_or_b64 exec, exec, s[4:5]
	s_mov_b32 s0, 0xaaaaaaab
	v_mul_hi_u32 v8, v6, s0
	v_sub_f16_e32 v26, v15, v26
	v_sub_f16_e32 v0, v18, v24
	v_fma_f16 v15, v15, 2.0, -v26
	v_lshrrev_b32_e32 v8, 1, v8
	v_lshl_add_u32 v8, v8, 1, v8
	v_sub_u32_e32 v6, v6, v8
	v_mul_u32_u24_e32 v34, 0x190, v6
	v_fma_f16 v6, v18, 2.0, -v0
	v_sub_f16_e32 v9, v25, v7
	v_sub_f16_e32 v7, v15, v6
	;; [unrolled: 1-line block ×4, first 2 shown]
	v_fma_f16 v20, v20, 2.0, -v8
	v_fma_f16 v17, v17, 2.0, -v6
	;; [unrolled: 1-line block ×3, first 2 shown]
	v_sub_f16_e32 v15, v29, v33
	v_sub_f16_e32 v17, v20, v17
	v_add_f16_e32 v35, v26, v9
	v_fma_f16 v19, v20, 2.0, -v17
	v_add_f16_e32 v20, v8, v15
	v_fma_f16 v36, v26, 2.0, -v35
	v_fma_f16 v21, v8, 2.0, -v20
	v_lshl_add_u32 v8, v10, 3, 0
	v_sub_f16_e32 v26, v12, v32
	v_lshl_add_u32 v32, v34, 1, v8
	v_pack_b32_f16 v7, v7, v35
	v_pack_b32_f16 v18, v18, v36
	ds_write2_b32 v32, v18, v7 offset1:1
	v_pack_b32_f16 v7, v17, v20
	v_pack_b32_f16 v17, v19, v21
	ds_write2_b32 v32, v17, v7 offset0:80 offset1:81
	v_add_u32_e32 v7, 0x50, v10
	v_sub_f16_e32 v24, v16, v31
	v_add_u32_e32 v33, 0x140, v32
	v_cmp_gt_u32_e64 s[0:1], 20, v10
	v_lshlrev_b32_e32 v31, 3, v7
	v_lshlrev_b32_e32 v7, 1, v34
	s_and_saveexec_b64 s[4:5], s[0:1]
	s_cbranch_execz .LBB0_16
; %bb.15:
	v_sub_f16_e32 v17, v14, v23
	v_fma_f16 v14, v14, 2.0, -v17
	v_fma_f16 v16, v16, 2.0, -v24
	v_add_f16_e32 v18, v17, v26
	v_sub_f16_e32 v16, v14, v16
	v_fma_f16 v19, v17, 2.0, -v18
	v_fma_f16 v14, v14, 2.0, -v16
	v_add3_u32 v17, 0, v31, v7
	v_pack_b32_f16 v14, v14, v19
	v_pack_b32_f16 v16, v16, v18
	ds_write2_b32 v17, v14, v16 offset1:1
.LBB0_16:
	s_or_b64 exec, exec, s[4:5]
	v_sub_f16_e32 v14, v22, v27
	v_fma_f16 v9, v25, 2.0, -v9
	v_sub_f16_e32 v25, v14, v0
	v_sub_f16_e32 v0, v28, v30
	v_fma_f16 v16, v22, 2.0, -v14
	v_sub_f16_e32 v30, v0, v6
	v_sub_f16_e32 v22, v16, v9
	v_fma_f16 v27, v14, 2.0, -v25
	v_fma_f16 v9, v28, 2.0, -v0
	;; [unrolled: 1-line block ×4, first 2 shown]
	v_lshlrev_b32_e32 v0, 1, v10
	v_sub_f16_e32 v28, v9, v14
	v_add3_u32 v6, 0, v7, v0
	v_mul_i32_i24_e32 v0, -6, v10
	v_fma_f16 v23, v16, 2.0, -v22
	v_fma_f16 v29, v9, 2.0, -v28
	s_waitcnt lgkmcnt(0)
	s_barrier
	v_add3_u32 v0, v8, v0, v7
	ds_read_u16 v8, v6
	ds_read_u16 v21, v0 offset:80
	ds_read_u16 v20, v0 offset:160
	ds_read_u16 v19, v0 offset:240
	ds_read_u16 v18, v0 offset:320
	ds_read_u16 v17, v0 offset:400
	ds_read_u16 v16, v0 offset:480
	ds_read_u16 v15, v0 offset:560
	ds_read_u16 v14, v0 offset:640
	ds_read_u16 v9, v0 offset:720
	v_pack_b32_f16 v23, v23, v27
	v_pack_b32_f16 v22, v22, v25
	s_waitcnt lgkmcnt(0)
	s_barrier
	ds_write2_b32 v32, v23, v22 offset1:1
	v_pack_b32_f16 v22, v29, v34
	v_pack_b32_f16 v23, v28, v30
	ds_write2_b32 v33, v22, v23 offset1:1
	s_and_saveexec_b64 s[4:5], s[0:1]
	s_cbranch_execz .LBB0_18
; %bb.17:
	v_sub_f16_e32 v13, v11, v13
	v_fma_f16 v11, v11, 2.0, -v13
	v_fma_f16 v12, v12, 2.0, -v26
	v_sub_f16_e32 v12, v11, v12
	v_sub_f16_e32 v22, v13, v24
	v_fma_f16 v11, v11, 2.0, -v12
	v_fma_f16 v13, v13, 2.0, -v22
	v_add3_u32 v23, 0, v31, v7
	v_pack_b32_f16 v11, v11, v13
	v_pack_b32_f16 v12, v12, v22
	ds_write2_b32 v23, v11, v12 offset1:1
.LBB0_18:
	s_or_b64 exec, exec, s[4:5]
	v_and_b32_e32 v11, 3, v10
	v_mul_u32_u24_e32 v12, 9, v11
	v_lshlrev_b32_e32 v12, 2, v12
	s_waitcnt lgkmcnt(0)
	s_barrier
	global_load_dwordx4 v[22:25], v12, s[12:13]
	global_load_dwordx4 v[26:29], v12, s[12:13] offset:16
	global_load_dword v13, v12, s[12:13] offset:32
	ds_read_u16 v12, v0 offset:160
	ds_read_u16 v30, v0 offset:240
	;; [unrolled: 1-line block ×9, first 2 shown]
	ds_read_u16 v38, v6
	s_mov_b32 s0, 0xbb9c
	s_movk_i32 s5, 0x3b9c
	s_mov_b32 s1, 0xb8b4
	s_movk_i32 s4, 0x38b4
	s_movk_i32 s6, 0x34f2
	;; [unrolled: 1-line block ×3, first 2 shown]
	s_mov_b32 s8, 0xb4f2
	s_mov_b32 s9, 0xba79
	s_waitcnt vmcnt(0) lgkmcnt(0)
	s_barrier
	v_mul_f16_sdwa v39, v37, v22 dst_sel:DWORD dst_unused:UNUSED_PAD src0_sel:DWORD src1_sel:WORD_1
	v_mul_f16_sdwa v41, v12, v23 dst_sel:DWORD dst_unused:UNUSED_PAD src0_sel:DWORD src1_sel:WORD_1
	;; [unrolled: 1-line block ×7, first 2 shown]
	v_fma_f16 v21, v21, v22, v39
	v_mul_f16_sdwa v39, v33, v27 dst_sel:DWORD dst_unused:UNUSED_PAD src0_sel:DWORD src1_sel:WORD_1
	v_fma_f16 v20, v20, v23, v41
	v_mul_f16_sdwa v41, v35, v29 dst_sel:DWORD dst_unused:UNUSED_PAD src0_sel:DWORD src1_sel:WORD_1
	v_mul_f16_sdwa v46, v18, v25 dst_sel:DWORD dst_unused:UNUSED_PAD src0_sel:DWORD src1_sel:WORD_1
	v_fma_f16 v22, v37, v22, -v40
	v_mul_f16_sdwa v37, v16, v27 dst_sel:DWORD dst_unused:UNUSED_PAD src0_sel:DWORD src1_sel:WORD_1
	v_mul_f16_sdwa v40, v34, v28 dst_sel:DWORD dst_unused:UNUSED_PAD src0_sel:DWORD src1_sel:WORD_1
	v_fma_f16 v12, v12, v23, -v42
	v_mul_f16_sdwa v23, v15, v28 dst_sel:DWORD dst_unused:UNUSED_PAD src0_sel:DWORD src1_sel:WORD_1
	v_fma_f16 v19, v19, v24, v43
	v_fma_f16 v24, v30, v24, -v44
	v_mul_f16_sdwa v30, v14, v29 dst_sel:DWORD dst_unused:UNUSED_PAD src0_sel:DWORD src1_sel:WORD_1
	v_fma_f16 v18, v18, v25, v45
	v_fma_f16 v16, v16, v27, v39
	;; [unrolled: 1-line block ×3, first 2 shown]
	v_mul_f16_sdwa v47, v32, v26 dst_sel:DWORD dst_unused:UNUSED_PAD src0_sel:DWORD src1_sel:WORD_1
	v_mul_f16_sdwa v48, v17, v26 dst_sel:DWORD dst_unused:UNUSED_PAD src0_sel:DWORD src1_sel:WORD_1
	;; [unrolled: 1-line block ×3, first 2 shown]
	v_fma_f16 v25, v31, v25, -v46
	v_mul_f16_sdwa v31, v9, v13 dst_sel:DWORD dst_unused:UNUSED_PAD src0_sel:DWORD src1_sel:WORD_1
	v_fma_f16 v27, v33, v27, -v37
	v_fma_f16 v15, v15, v28, v40
	v_fma_f16 v23, v34, v28, -v23
	v_fma_f16 v28, v35, v29, -v30
	v_add_f16_e32 v29, v18, v16
	v_add_f16_e32 v34, v20, v14
	v_fma_f16 v17, v17, v26, v47
	v_fma_f16 v26, v32, v26, -v48
	v_fma_f16 v9, v9, v13, v42
	v_fma_f16 v13, v36, v13, -v31
	v_sub_f16_e32 v30, v12, v28
	v_sub_f16_e32 v31, v25, v27
	;; [unrolled: 1-line block ×6, first 2 shown]
	v_add_f16_e32 v37, v8, v20
	v_fma_f16 v29, v29, -0.5, v8
	v_fma_f16 v8, v34, -0.5, v8
	v_add_f16_e32 v32, v32, v33
	v_add_f16_e32 v33, v35, v36
	v_add_f16_e32 v34, v37, v18
	v_fma_f16 v36, v30, s0, v29
	v_fma_f16 v29, v30, s5, v29
	;; [unrolled: 1-line block ×8, first 2 shown]
	v_add_f16_e32 v34, v34, v16
	v_fma_f16 v31, v33, s6, v31
	v_fma_f16 v8, v33, s6, v8
	v_add_f16_e32 v33, v25, v27
	v_add_f16_e32 v39, v38, v12
	v_add_f16_e32 v30, v34, v14
	v_fma_f16 v33, v33, -0.5, v38
	v_sub_f16_e32 v14, v20, v14
	v_add_f16_e32 v35, v39, v25
	v_fma_f16 v20, v14, s5, v33
	v_sub_f16_e32 v16, v18, v16
	v_fma_f16 v34, v32, s6, v36
	v_fma_f16 v29, v32, s6, v29
	v_add_f16_e32 v32, v35, v27
	v_fma_f16 v18, v16, s4, v20
	v_sub_f16_e32 v20, v12, v25
	v_sub_f16_e32 v35, v28, v27
	v_fma_f16 v33, v14, s0, v33
	v_add_f16_e32 v20, v20, v35
	v_fma_f16 v33, v16, s1, v33
	v_fma_f16 v18, v20, s6, v18
	;; [unrolled: 1-line block ×3, first 2 shown]
	v_add_f16_e32 v33, v12, v28
	v_fma_f16 v33, v33, -0.5, v38
	v_fma_f16 v35, v16, s0, v33
	v_fma_f16 v16, v16, s5, v33
	;; [unrolled: 1-line block ×3, first 2 shown]
	v_sub_f16_e32 v12, v25, v12
	v_sub_f16_e32 v25, v27, v28
	v_fma_f16 v14, v14, s1, v16
	v_add_f16_e32 v16, v17, v15
	v_add_f16_e32 v12, v12, v25
	v_fma_f16 v16, v16, -0.5, v21
	v_sub_f16_e32 v27, v24, v13
	v_add_f16_e32 v32, v32, v28
	v_fma_f16 v25, v12, s6, v35
	v_fma_f16 v28, v27, s0, v16
	v_sub_f16_e32 v33, v26, v23
	v_sub_f16_e32 v35, v19, v17
	;; [unrolled: 1-line block ×3, first 2 shown]
	v_fma_f16 v16, v27, s5, v16
	v_fma_f16 v28, v33, s1, v28
	v_add_f16_e32 v35, v35, v36
	v_fma_f16 v16, v33, s4, v16
	v_fma_f16 v12, v12, s6, v14
	v_add_f16_e32 v14, v21, v19
	;; [unrolled: 3-line block ×3, first 2 shown]
	v_add_f16_e32 v14, v14, v17
	v_fma_f16 v21, v35, -0.5, v21
	v_sub_f16_e32 v35, v17, v19
	v_sub_f16_e32 v36, v15, v9
	v_add_f16_e32 v14, v14, v15
	v_add_f16_e32 v35, v35, v36
	v_fma_f16 v36, v33, s5, v21
	v_fma_f16 v21, v33, s0, v21
	v_add_f16_e32 v33, v26, v23
	v_add_f16_e32 v14, v14, v9
	v_fma_f16 v33, v33, -0.5, v22
	v_sub_f16_e32 v9, v19, v9
	v_fma_f16 v36, v27, s1, v36
	v_fma_f16 v21, v27, s4, v21
	;; [unrolled: 1-line block ×3, first 2 shown]
	v_sub_f16_e32 v15, v17, v15
	v_fma_f16 v36, v35, s6, v36
	v_fma_f16 v21, v35, s6, v21
	;; [unrolled: 1-line block ×3, first 2 shown]
	v_sub_f16_e32 v19, v24, v26
	v_sub_f16_e32 v35, v13, v23
	v_fma_f16 v33, v9, s0, v33
	v_add_f16_e32 v27, v22, v24
	v_add_f16_e32 v19, v19, v35
	v_fma_f16 v33, v15, s1, v33
	v_add_f16_e32 v27, v27, v26
	v_fma_f16 v17, v19, s6, v17
	v_fma_f16 v19, v19, s6, v33
	v_add_f16_e32 v33, v24, v13
	v_add_f16_e32 v27, v27, v23
	v_fma_f16 v22, v33, -0.5, v22
	v_add_f16_e32 v27, v27, v13
	v_fma_f16 v33, v15, s0, v22
	v_sub_f16_e32 v24, v26, v24
	v_sub_f16_e32 v13, v23, v13
	v_fma_f16 v15, v15, s5, v22
	v_fma_f16 v33, v9, s4, v33
	v_add_f16_e32 v13, v24, v13
	v_fma_f16 v9, v9, s1, v15
	v_fma_f16 v23, v13, s6, v33
	;; [unrolled: 1-line block ×3, first 2 shown]
	v_mul_f16_e32 v15, 0xb8b4, v17
	v_mul_f16_e32 v24, 0xbb9c, v23
	;; [unrolled: 1-line block ×5, first 2 shown]
	v_fma_f16 v15, v28, s7, v15
	v_fma_f16 v23, v36, s5, v23
	;; [unrolled: 1-line block ×3, first 2 shown]
	v_add_f16_e32 v13, v30, v14
	v_add_f16_e32 v22, v34, v15
	v_sub_f16_e32 v14, v30, v14
	v_add_f16_e32 v30, v25, v23
	v_sub_f16_e32 v15, v34, v15
	;; [unrolled: 2-line block ×3, first 2 shown]
	v_sub_f16_e32 v25, v12, v9
	v_lshrrev_b32_e32 v9, 2, v10
	v_mul_f16_e32 v17, 0x3a79, v17
	v_mul_u32_u24_e32 v9, 40, v9
	v_fma_f16 v17, v28, s4, v17
	v_mul_f16_e32 v28, 0xb8b4, v19
	v_or_b32_e32 v9, v9, v11
	v_fma_f16 v33, v21, s8, v33
	v_fma_f16 v28, v16, s9, v28
	v_mul_f16_e32 v19, 0xba79, v19
	v_lshlrev_b32_e32 v9, 1, v9
	v_fma_f16 v24, v36, s6, v24
	v_add_f16_e32 v35, v8, v33
	v_add_f16_e32 v36, v29, v28
	v_fma_f16 v16, v16, s4, v19
	v_sub_f16_e32 v8, v8, v33
	v_sub_f16_e32 v28, v29, v28
	v_add3_u32 v29, 0, v9, v7
	v_add_f16_e32 v26, v31, v24
	v_add_f16_e32 v19, v18, v17
	v_sub_f16_e32 v24, v31, v24
	v_add_f16_e32 v31, v20, v16
	v_sub_f16_e32 v18, v18, v17
	v_sub_f16_e32 v20, v20, v16
	ds_write_b16 v29, v13
	ds_write_b16 v29, v22 offset:8
	ds_write_b16 v29, v26 offset:16
	ds_write_b16 v29, v35 offset:24
	ds_write_b16 v29, v36 offset:32
	ds_write_b16 v29, v14 offset:40
	ds_write_b16 v29, v15 offset:48
	ds_write_b16 v29, v24 offset:56
	ds_write_b16 v29, v8 offset:64
	ds_write_b16 v29, v28 offset:72
	s_waitcnt lgkmcnt(0)
	s_barrier
	ds_read_u16 v7, v6
	ds_read_u16 v8, v0 offset:80
	ds_read_u16 v11, v0 offset:160
	;; [unrolled: 1-line block ×9, first 2 shown]
	v_add_f16_e32 v21, v32, v27
	v_sub_f16_e32 v27, v32, v27
	s_waitcnt lgkmcnt(0)
	s_barrier
	ds_write_b16 v29, v21
	ds_write_b16 v29, v19 offset:8
	ds_write_b16 v29, v30 offset:16
	;; [unrolled: 1-line block ×9, first 2 shown]
	s_waitcnt lgkmcnt(0)
	s_barrier
	s_and_saveexec_b64 s[14:15], vcc
	s_cbranch_execz .LBB0_20
; %bb.19:
	v_mul_u32_u24_e32 v10, 9, v10
	v_lshlrev_b32_e32 v10, 2, v10
	global_load_dwordx4 v[18:21], v10, s[12:13] offset:160
	global_load_dwordx4 v[22:25], v10, s[12:13] offset:144
	global_load_dword v28, v10, s[12:13] offset:176
	ds_read_u16 v10, v0 offset:640
	ds_read_u16 v29, v0 offset:720
	v_mul_lo_u32 v30, s3, v4
	v_mul_lo_u32 v5, s2, v5
	v_mad_u64_u32 v[26:27], s[2:3], s2, v4, 0
	ds_read_u16 v4, v6
	ds_read_u16 v6, v0 offset:560
	ds_read_u16 v31, v0 offset:480
	;; [unrolled: 1-line block ×7, first 2 shown]
	v_add3_u32 v27, v27, v5, v30
	s_waitcnt vmcnt(2)
	v_lshrrev_b32_e32 v5, 16, v18
	v_lshrrev_b32_e32 v30, 16, v20
	v_mul_f16_sdwa v36, v17, v21 dst_sel:DWORD dst_unused:UNUSED_PAD src0_sel:DWORD src1_sel:WORD_1
	v_mul_f16_sdwa v37, v16, v19 dst_sel:DWORD dst_unused:UNUSED_PAD src0_sel:DWORD src1_sel:WORD_1
	s_waitcnt lgkmcnt(9)
	v_mul_f16_sdwa v38, v10, v21 dst_sel:DWORD dst_unused:UNUSED_PAD src0_sel:DWORD src1_sel:WORD_1
	s_waitcnt lgkmcnt(5)
	v_mul_f16_sdwa v39, v31, v19 dst_sel:DWORD dst_unused:UNUSED_PAD src0_sel:DWORD src1_sel:WORD_1
	v_mul_f16_e32 v40, v14, v18
	v_mul_f16_e32 v41, v15, v20
	s_waitcnt vmcnt(1)
	v_lshrrev_b32_e32 v42, 16, v22
	v_lshrrev_b32_e32 v43, 16, v24
	v_mul_f16_sdwa v44, v11, v23 dst_sel:DWORD dst_unused:UNUSED_PAD src0_sel:DWORD src1_sel:WORD_1
	v_mul_f16_sdwa v45, v12, v25 dst_sel:DWORD dst_unused:UNUSED_PAD src0_sel:DWORD src1_sel:WORD_1
	s_waitcnt lgkmcnt(1)
	v_mul_f16_sdwa v46, v35, v23 dst_sel:DWORD dst_unused:UNUSED_PAD src0_sel:DWORD src1_sel:WORD_1
	v_mul_f16_sdwa v47, v33, v25 dst_sel:DWORD dst_unused:UNUSED_PAD src0_sel:DWORD src1_sel:WORD_1
	v_mul_f16_e32 v48, v9, v24
	s_waitcnt vmcnt(0)
	v_lshrrev_b32_e32 v49, 16, v28
	v_mul_f16_e32 v50, v13, v28
	v_mul_f16_e32 v51, v8, v22
	v_fma_f16 v10, v10, v21, -v36
	v_fma_f16 v31, v31, v19, -v37
	v_fma_f16 v17, v17, v21, v38
	v_fma_f16 v16, v16, v19, v39
	v_mul_f16_e32 v14, v14, v5
	v_mul_f16_e32 v15, v15, v30
	v_fma_f16 v5, v32, v5, v40
	v_fma_f16 v19, v6, v30, v41
	v_fma_f16 v21, v35, v23, -v44
	v_fma_f16 v30, v33, v25, -v45
	v_fma_f16 v11, v11, v23, v46
	v_fma_f16 v12, v12, v25, v47
	;; [unrolled: 1-line block ×3, first 2 shown]
	v_mul_f16_e32 v9, v9, v43
	v_fma_f16 v25, v29, v49, v50
	v_mul_f16_e32 v13, v13, v49
	v_mul_f16_e32 v8, v8, v42
	s_waitcnt lgkmcnt(0)
	v_fma_f16 v33, v0, v42, v51
	v_fma_f16 v14, v32, v18, -v14
	v_fma_f16 v6, v6, v20, -v15
	v_sub_f16_e32 v15, v21, v30
	v_sub_f16_e32 v18, v10, v31
	v_fma_f16 v9, v34, v24, -v9
	v_fma_f16 v0, v0, v22, -v8
	v_sub_f16_e32 v22, v23, v5
	v_sub_f16_e32 v24, v25, v19
	v_fma_f16 v13, v29, v28, -v13
	v_sub_f16_e32 v28, v30, v21
	v_sub_f16_e32 v29, v31, v10
	v_add_f16_e32 v32, v21, v10
	v_sub_f16_e32 v34, v5, v23
	v_sub_f16_e32 v35, v19, v25
	;; [unrolled: 1-line block ×3, first 2 shown]
	v_add_f16_e32 v15, v15, v18
	v_add_f16_e32 v18, v22, v24
	v_sub_f16_e32 v22, v9, v14
	v_add_f16_e32 v24, v28, v29
	v_sub_f16_e32 v28, v13, v6
	v_fma_f16 v29, v32, -0.5, v4
	v_add_f16_e32 v32, v34, v35
	v_sub_f16_e32 v34, v14, v9
	v_sub_f16_e32 v35, v6, v13
	;; [unrolled: 1-line block ×3, first 2 shown]
	v_add_f16_e32 v22, v22, v28
	v_add_f16_e32 v28, v34, v35
	v_fma_f16 v34, v8, s5, v29
	v_fma_f16 v29, v8, s0, v29
	;; [unrolled: 1-line block ×6, first 2 shown]
	v_add_f16_e32 v29, v23, v25
	v_fma_f16 v29, v29, -0.5, v33
	v_sub_f16_e32 v36, v14, v6
	v_sub_f16_e32 v35, v9, v13
	v_fma_f16 v37, v36, s0, v29
	v_fma_f16 v29, v36, s5, v29
	;; [unrolled: 1-line block ×6, first 2 shown]
	v_add_f16_e32 v32, v9, v13
	v_fma_f16 v32, v32, -0.5, v0
	v_sub_f16_e32 v39, v5, v19
	v_sub_f16_e32 v38, v23, v25
	v_fma_f16 v40, v39, s5, v32
	v_fma_f16 v32, v39, s0, v32
	v_fma_f16 v40, v38, s1, v40
	v_fma_f16 v32, v38, s4, v32
	v_fma_f16 v40, v28, s6, v40
	v_fma_f16 v28, v28, s6, v32
	v_add_f16_e32 v32, v30, v31
	v_fma_f16 v32, v32, -0.5, v4
	v_fma_f16 v41, v20, s0, v32
	v_fma_f16 v20, v20, s5, v32
	v_fma_f16 v32, v8, s1, v41
	v_fma_f16 v8, v8, s4, v20
	v_fma_f16 v20, v15, s6, v32
	v_fma_f16 v8, v15, s6, v8
	v_add_f16_e32 v15, v5, v19
	v_fma_f16 v15, v15, -0.5, v33
	;; [unrolled: 8-line block ×3, first 2 shown]
	v_fma_f16 v35, v38, s0, v18
	v_fma_f16 v18, v38, s5, v18
	;; [unrolled: 1-line block ×4, first 2 shown]
	v_add_f16_e32 v0, v9, v0
	v_add_f16_e32 v4, v21, v4
	v_fma_f16 v35, v22, s6, v35
	v_fma_f16 v18, v22, s6, v18
	v_add_f16_e32 v0, v14, v0
	v_add_f16_e32 v4, v30, v4
	v_sub_f16_e32 v14, v30, v31
	v_sub_f16_e32 v22, v12, v11
	;; [unrolled: 1-line block ×3, first 2 shown]
	v_add_f16_e32 v0, v6, v0
	v_sub_f16_e32 v6, v11, v12
	v_sub_f16_e32 v9, v17, v16
	v_add_f16_e32 v4, v31, v4
	v_add_f16_e32 v22, v22, v30
	;; [unrolled: 1-line block ×4, first 2 shown]
	v_mul_f16_e32 v9, 0xba79, v35
	v_add_f16_e32 v4, v10, v4
	v_sub_f16_e32 v10, v21, v10
	v_mul_f16_e32 v21, 0xb8b4, v35
	v_fma_f16 v30, v30, -0.5, v7
	v_fma_f16 v9, v32, s4, v9
	v_fma_f16 v21, v32, s9, v21
	;; [unrolled: 1-line block ×8, first 2 shown]
	v_mul_f16_e32 v30, 0x34f2, v28
	v_mul_f16_e32 v28, 0xbb9c, v28
	v_fma_f16 v30, v29, s5, v30
	v_fma_f16 v28, v29, s6, v28
	v_add_f16_e32 v29, v12, v16
	v_fma_f16 v29, v29, -0.5, v7
	v_fma_f16 v35, v10, s5, v29
	v_fma_f16 v10, v10, s0, v29
	v_add_f16_e32 v7, v7, v11
	v_add_f16_e32 v23, v23, v33
	v_fma_f16 v29, v14, s4, v35
	v_fma_f16 v10, v14, s1, v10
	v_add_f16_e32 v7, v7, v12
	v_add_f16_e32 v5, v5, v23
	v_fma_f16 v29, v6, s6, v29
	v_fma_f16 v6, v6, s6, v10
	v_mul_f16_e32 v10, 0x3a79, v18
	v_mul_f16_e32 v18, 0xb8b4, v18
	v_add_f16_e32 v7, v7, v16
	v_add_f16_e32 v5, v19, v5
	v_fma_f16 v10, v15, s4, v10
	v_fma_f16 v15, v15, s7, v18
	v_add_f16_e32 v7, v17, v7
	v_add_f16_e32 v5, v25, v5
	v_sub_f16_e32 v19, v6, v15
	v_sub_f16_e32 v25, v7, v5
	v_add_f16_e32 v15, v6, v15
	v_add_f16_e32 v7, v7, v5
	v_lshlrev_b64 v[5:6], 2, v[26:27]
	v_add_f16_e32 v0, v13, v0
	v_sub_f16_e32 v12, v8, v10
	v_sub_f16_e32 v16, v4, v0
	v_add_f16_e32 v8, v8, v10
	v_add_f16_e32 v10, v4, v0
	v_mov_b32_e32 v0, s11
	v_add_co_u32_e32 v5, vcc, s10, v5
	v_addc_co_u32_e32 v6, vcc, v0, v6, vcc
	v_lshlrev_b64 v[0:1], 2, v[1:2]
	v_mov_b32_e32 v4, 0
	v_add_co_u32_e32 v2, vcc, v5, v0
	v_addc_co_u32_e32 v5, vcc, v6, v1, vcc
	v_lshlrev_b64 v[0:1], 2, v[3:4]
	v_mul_f16_e32 v13, 0xb4f2, v40
	v_add_co_u32_e32 v0, vcc, v2, v0
	v_mul_f16_e32 v31, 0xbb9c, v40
	v_addc_co_u32_e32 v1, vcc, v5, v1, vcc
	v_pack_b32_f16 v2, v7, v10
	v_fma_f16 v13, v37, s5, v13
	v_fma_f16 v31, v37, s8, v31
	v_sub_f16_e32 v14, v20, v9
	v_sub_f16_e32 v23, v22, v28
	v_add_f16_e32 v9, v20, v9
	v_add_f16_e32 v20, v24, v30
	;; [unrolled: 1-line block ×3, first 2 shown]
	global_store_dword v[0:1], v2, off
	v_pack_b32_f16 v2, v15, v8
	v_sub_f16_e32 v18, v34, v13
	v_sub_f16_e32 v11, v24, v30
	v_add_f16_e32 v13, v34, v13
	v_add_f16_e32 v24, v32, v31
	global_store_dword v[0:1], v2, off offset:160
	v_pack_b32_f16 v2, v22, v20
	v_sub_f16_e32 v17, v29, v21
	v_add_f16_e32 v21, v29, v21
	global_store_dword v[0:1], v2, off offset:320
	v_pack_b32_f16 v2, v24, v13
	global_store_dword v[0:1], v2, off offset:480
	v_pack_b32_f16 v2, v21, v9
	;; [unrolled: 2-line block ×4, first 2 shown]
	v_sub_f16_e32 v33, v32, v31
	global_store_dword v[0:1], v2, off offset:960
	v_pack_b32_f16 v2, v23, v11
	global_store_dword v[0:1], v2, off offset:1120
	v_pack_b32_f16 v2, v33, v18
	;; [unrolled: 2-line block ×3, first 2 shown]
	global_store_dword v[0:1], v2, off offset:1440
.LBB0_20:
	s_endpgm
	.section	.rodata,"a",@progbits
	.p2align	6, 0x0
	.amdhsa_kernel fft_rtc_back_len400_factors_4_10_10_wgs_120_tpt_40_halfLds_half_op_CI_CI_unitstride_sbrr_dirReg
		.amdhsa_group_segment_fixed_size 0
		.amdhsa_private_segment_fixed_size 0
		.amdhsa_kernarg_size 104
		.amdhsa_user_sgpr_count 6
		.amdhsa_user_sgpr_private_segment_buffer 1
		.amdhsa_user_sgpr_dispatch_ptr 0
		.amdhsa_user_sgpr_queue_ptr 0
		.amdhsa_user_sgpr_kernarg_segment_ptr 1
		.amdhsa_user_sgpr_dispatch_id 0
		.amdhsa_user_sgpr_flat_scratch_init 0
		.amdhsa_user_sgpr_private_segment_size 0
		.amdhsa_uses_dynamic_stack 0
		.amdhsa_system_sgpr_private_segment_wavefront_offset 0
		.amdhsa_system_sgpr_workgroup_id_x 1
		.amdhsa_system_sgpr_workgroup_id_y 0
		.amdhsa_system_sgpr_workgroup_id_z 0
		.amdhsa_system_sgpr_workgroup_info 0
		.amdhsa_system_vgpr_workitem_id 0
		.amdhsa_next_free_vgpr 52
		.amdhsa_next_free_sgpr 28
		.amdhsa_reserve_vcc 1
		.amdhsa_reserve_flat_scratch 0
		.amdhsa_float_round_mode_32 0
		.amdhsa_float_round_mode_16_64 0
		.amdhsa_float_denorm_mode_32 3
		.amdhsa_float_denorm_mode_16_64 3
		.amdhsa_dx10_clamp 1
		.amdhsa_ieee_mode 1
		.amdhsa_fp16_overflow 0
		.amdhsa_exception_fp_ieee_invalid_op 0
		.amdhsa_exception_fp_denorm_src 0
		.amdhsa_exception_fp_ieee_div_zero 0
		.amdhsa_exception_fp_ieee_overflow 0
		.amdhsa_exception_fp_ieee_underflow 0
		.amdhsa_exception_fp_ieee_inexact 0
		.amdhsa_exception_int_div_zero 0
	.end_amdhsa_kernel
	.text
.Lfunc_end0:
	.size	fft_rtc_back_len400_factors_4_10_10_wgs_120_tpt_40_halfLds_half_op_CI_CI_unitstride_sbrr_dirReg, .Lfunc_end0-fft_rtc_back_len400_factors_4_10_10_wgs_120_tpt_40_halfLds_half_op_CI_CI_unitstride_sbrr_dirReg
                                        ; -- End function
	.section	.AMDGPU.csdata,"",@progbits
; Kernel info:
; codeLenInByte = 5440
; NumSgprs: 32
; NumVgprs: 52
; ScratchSize: 0
; MemoryBound: 0
; FloatMode: 240
; IeeeMode: 1
; LDSByteSize: 0 bytes/workgroup (compile time only)
; SGPRBlocks: 3
; VGPRBlocks: 12
; NumSGPRsForWavesPerEU: 32
; NumVGPRsForWavesPerEU: 52
; Occupancy: 4
; WaveLimiterHint : 1
; COMPUTE_PGM_RSRC2:SCRATCH_EN: 0
; COMPUTE_PGM_RSRC2:USER_SGPR: 6
; COMPUTE_PGM_RSRC2:TRAP_HANDLER: 0
; COMPUTE_PGM_RSRC2:TGID_X_EN: 1
; COMPUTE_PGM_RSRC2:TGID_Y_EN: 0
; COMPUTE_PGM_RSRC2:TGID_Z_EN: 0
; COMPUTE_PGM_RSRC2:TIDIG_COMP_CNT: 0
	.type	__hip_cuid_445ede463fdcac3c,@object ; @__hip_cuid_445ede463fdcac3c
	.section	.bss,"aw",@nobits
	.globl	__hip_cuid_445ede463fdcac3c
__hip_cuid_445ede463fdcac3c:
	.byte	0                               ; 0x0
	.size	__hip_cuid_445ede463fdcac3c, 1

	.ident	"AMD clang version 19.0.0git (https://github.com/RadeonOpenCompute/llvm-project roc-6.4.0 25133 c7fe45cf4b819c5991fe208aaa96edf142730f1d)"
	.section	".note.GNU-stack","",@progbits
	.addrsig
	.addrsig_sym __hip_cuid_445ede463fdcac3c
	.amdgpu_metadata
---
amdhsa.kernels:
  - .args:
      - .actual_access:  read_only
        .address_space:  global
        .offset:         0
        .size:           8
        .value_kind:     global_buffer
      - .offset:         8
        .size:           8
        .value_kind:     by_value
      - .actual_access:  read_only
        .address_space:  global
        .offset:         16
        .size:           8
        .value_kind:     global_buffer
      - .actual_access:  read_only
        .address_space:  global
        .offset:         24
        .size:           8
        .value_kind:     global_buffer
      - .actual_access:  read_only
        .address_space:  global
        .offset:         32
        .size:           8
        .value_kind:     global_buffer
      - .offset:         40
        .size:           8
        .value_kind:     by_value
      - .actual_access:  read_only
        .address_space:  global
        .offset:         48
        .size:           8
        .value_kind:     global_buffer
      - .actual_access:  read_only
        .address_space:  global
        .offset:         56
        .size:           8
        .value_kind:     global_buffer
      - .offset:         64
        .size:           4
        .value_kind:     by_value
      - .actual_access:  read_only
        .address_space:  global
        .offset:         72
        .size:           8
        .value_kind:     global_buffer
      - .actual_access:  read_only
        .address_space:  global
        .offset:         80
        .size:           8
        .value_kind:     global_buffer
      - .actual_access:  read_only
        .address_space:  global
        .offset:         88
        .size:           8
        .value_kind:     global_buffer
      - .actual_access:  write_only
        .address_space:  global
        .offset:         96
        .size:           8
        .value_kind:     global_buffer
    .group_segment_fixed_size: 0
    .kernarg_segment_align: 8
    .kernarg_segment_size: 104
    .language:       OpenCL C
    .language_version:
      - 2
      - 0
    .max_flat_workgroup_size: 120
    .name:           fft_rtc_back_len400_factors_4_10_10_wgs_120_tpt_40_halfLds_half_op_CI_CI_unitstride_sbrr_dirReg
    .private_segment_fixed_size: 0
    .sgpr_count:     32
    .sgpr_spill_count: 0
    .symbol:         fft_rtc_back_len400_factors_4_10_10_wgs_120_tpt_40_halfLds_half_op_CI_CI_unitstride_sbrr_dirReg.kd
    .uniform_work_group_size: 1
    .uses_dynamic_stack: false
    .vgpr_count:     52
    .vgpr_spill_count: 0
    .wavefront_size: 64
amdhsa.target:   amdgcn-amd-amdhsa--gfx906
amdhsa.version:
  - 1
  - 2
...

	.end_amdgpu_metadata
